;; amdgpu-corpus repo=ROCm/rocFFT kind=compiled arch=gfx1030 opt=O3
	.text
	.amdgcn_target "amdgcn-amd-amdhsa--gfx1030"
	.amdhsa_code_object_version 6
	.protected	fft_rtc_fwd_len1872_factors_13_3_4_6_2_wgs_156_tpt_156_halfLds_half_ip_CI_unitstride_sbrr_C2R_dirReg ; -- Begin function fft_rtc_fwd_len1872_factors_13_3_4_6_2_wgs_156_tpt_156_halfLds_half_ip_CI_unitstride_sbrr_C2R_dirReg
	.globl	fft_rtc_fwd_len1872_factors_13_3_4_6_2_wgs_156_tpt_156_halfLds_half_ip_CI_unitstride_sbrr_C2R_dirReg
	.p2align	8
	.type	fft_rtc_fwd_len1872_factors_13_3_4_6_2_wgs_156_tpt_156_halfLds_half_ip_CI_unitstride_sbrr_C2R_dirReg,@function
fft_rtc_fwd_len1872_factors_13_3_4_6_2_wgs_156_tpt_156_halfLds_half_ip_CI_unitstride_sbrr_C2R_dirReg: ; @fft_rtc_fwd_len1872_factors_13_3_4_6_2_wgs_156_tpt_156_halfLds_half_ip_CI_unitstride_sbrr_C2R_dirReg
; %bb.0:
	s_clause 0x2
	s_load_dwordx4 s[8:11], s[4:5], 0x0
	s_load_dwordx2 s[2:3], s[4:5], 0x50
	s_load_dwordx2 s[12:13], s[4:5], 0x18
	v_mul_u32_u24_e32 v1, 0x1a5, v0
	v_mov_b32_e32 v3, 0
	v_add_nc_u32_sdwa v5, s6, v1 dst_sel:DWORD dst_unused:UNUSED_PAD src0_sel:DWORD src1_sel:WORD_1
	v_mov_b32_e32 v1, 0
	v_mov_b32_e32 v6, v3
	v_mov_b32_e32 v2, 0
	s_waitcnt lgkmcnt(0)
	v_cmp_lt_u64_e64 s0, s[10:11], 2
	s_and_b32 vcc_lo, exec_lo, s0
	s_cbranch_vccnz .LBB0_8
; %bb.1:
	s_load_dwordx2 s[0:1], s[4:5], 0x10
	v_mov_b32_e32 v1, 0
	s_add_u32 s6, s12, 8
	v_mov_b32_e32 v2, 0
	s_addc_u32 s7, s13, 0
	s_mov_b64 s[16:17], 1
	s_waitcnt lgkmcnt(0)
	s_add_u32 s14, s0, 8
	s_addc_u32 s15, s1, 0
.LBB0_2:                                ; =>This Inner Loop Header: Depth=1
	s_load_dwordx2 s[18:19], s[14:15], 0x0
                                        ; implicit-def: $vgpr7_vgpr8
	s_mov_b32 s0, exec_lo
	s_waitcnt lgkmcnt(0)
	v_or_b32_e32 v4, s19, v6
	v_cmpx_ne_u64_e32 0, v[3:4]
	s_xor_b32 s1, exec_lo, s0
	s_cbranch_execz .LBB0_4
; %bb.3:                                ;   in Loop: Header=BB0_2 Depth=1
	v_cvt_f32_u32_e32 v4, s18
	v_cvt_f32_u32_e32 v7, s19
	s_sub_u32 s0, 0, s18
	s_subb_u32 s20, 0, s19
	v_fmac_f32_e32 v4, 0x4f800000, v7
	v_rcp_f32_e32 v4, v4
	v_mul_f32_e32 v4, 0x5f7ffffc, v4
	v_mul_f32_e32 v7, 0x2f800000, v4
	v_trunc_f32_e32 v7, v7
	v_fmac_f32_e32 v4, 0xcf800000, v7
	v_cvt_u32_f32_e32 v7, v7
	v_cvt_u32_f32_e32 v4, v4
	v_mul_lo_u32 v8, s0, v7
	v_mul_hi_u32 v9, s0, v4
	v_mul_lo_u32 v10, s20, v4
	v_add_nc_u32_e32 v8, v9, v8
	v_mul_lo_u32 v9, s0, v4
	v_add_nc_u32_e32 v8, v8, v10
	v_mul_hi_u32 v10, v4, v9
	v_mul_lo_u32 v11, v4, v8
	v_mul_hi_u32 v12, v4, v8
	v_mul_hi_u32 v13, v7, v9
	v_mul_lo_u32 v9, v7, v9
	v_mul_hi_u32 v14, v7, v8
	v_mul_lo_u32 v8, v7, v8
	v_add_co_u32 v10, vcc_lo, v10, v11
	v_add_co_ci_u32_e32 v11, vcc_lo, 0, v12, vcc_lo
	v_add_co_u32 v9, vcc_lo, v10, v9
	v_add_co_ci_u32_e32 v9, vcc_lo, v11, v13, vcc_lo
	v_add_co_ci_u32_e32 v10, vcc_lo, 0, v14, vcc_lo
	v_add_co_u32 v8, vcc_lo, v9, v8
	v_add_co_ci_u32_e32 v9, vcc_lo, 0, v10, vcc_lo
	v_add_co_u32 v4, vcc_lo, v4, v8
	v_add_co_ci_u32_e32 v7, vcc_lo, v7, v9, vcc_lo
	v_mul_hi_u32 v8, s0, v4
	v_mul_lo_u32 v10, s20, v4
	v_mul_lo_u32 v9, s0, v7
	v_add_nc_u32_e32 v8, v8, v9
	v_mul_lo_u32 v9, s0, v4
	v_add_nc_u32_e32 v8, v8, v10
	v_mul_hi_u32 v10, v4, v9
	v_mul_lo_u32 v11, v4, v8
	v_mul_hi_u32 v12, v4, v8
	v_mul_hi_u32 v13, v7, v9
	v_mul_lo_u32 v9, v7, v9
	v_mul_hi_u32 v14, v7, v8
	v_mul_lo_u32 v8, v7, v8
	v_add_co_u32 v10, vcc_lo, v10, v11
	v_add_co_ci_u32_e32 v11, vcc_lo, 0, v12, vcc_lo
	v_add_co_u32 v9, vcc_lo, v10, v9
	v_add_co_ci_u32_e32 v9, vcc_lo, v11, v13, vcc_lo
	v_add_co_ci_u32_e32 v10, vcc_lo, 0, v14, vcc_lo
	v_add_co_u32 v8, vcc_lo, v9, v8
	v_add_co_ci_u32_e32 v9, vcc_lo, 0, v10, vcc_lo
	v_add_co_u32 v4, vcc_lo, v4, v8
	v_add_co_ci_u32_e32 v11, vcc_lo, v7, v9, vcc_lo
	v_mul_hi_u32 v13, v5, v4
	v_mad_u64_u32 v[9:10], null, v6, v4, 0
	v_mad_u64_u32 v[7:8], null, v5, v11, 0
	;; [unrolled: 1-line block ×3, first 2 shown]
	v_add_co_u32 v4, vcc_lo, v13, v7
	v_add_co_ci_u32_e32 v7, vcc_lo, 0, v8, vcc_lo
	v_add_co_u32 v4, vcc_lo, v4, v9
	v_add_co_ci_u32_e32 v4, vcc_lo, v7, v10, vcc_lo
	v_add_co_ci_u32_e32 v7, vcc_lo, 0, v12, vcc_lo
	v_add_co_u32 v4, vcc_lo, v4, v11
	v_add_co_ci_u32_e32 v9, vcc_lo, 0, v7, vcc_lo
	v_mul_lo_u32 v10, s19, v4
	v_mad_u64_u32 v[7:8], null, s18, v4, 0
	v_mul_lo_u32 v11, s18, v9
	v_sub_co_u32 v7, vcc_lo, v5, v7
	v_add3_u32 v8, v8, v11, v10
	v_sub_nc_u32_e32 v10, v6, v8
	v_subrev_co_ci_u32_e64 v10, s0, s19, v10, vcc_lo
	v_add_co_u32 v11, s0, v4, 2
	v_add_co_ci_u32_e64 v12, s0, 0, v9, s0
	v_sub_co_u32 v13, s0, v7, s18
	v_sub_co_ci_u32_e32 v8, vcc_lo, v6, v8, vcc_lo
	v_subrev_co_ci_u32_e64 v10, s0, 0, v10, s0
	v_cmp_le_u32_e32 vcc_lo, s18, v13
	v_cmp_eq_u32_e64 s0, s19, v8
	v_cndmask_b32_e64 v13, 0, -1, vcc_lo
	v_cmp_le_u32_e32 vcc_lo, s19, v10
	v_cndmask_b32_e64 v14, 0, -1, vcc_lo
	v_cmp_le_u32_e32 vcc_lo, s18, v7
	;; [unrolled: 2-line block ×3, first 2 shown]
	v_cndmask_b32_e64 v15, 0, -1, vcc_lo
	v_cmp_eq_u32_e32 vcc_lo, s19, v10
	v_cndmask_b32_e64 v7, v15, v7, s0
	v_cndmask_b32_e32 v10, v14, v13, vcc_lo
	v_add_co_u32 v13, vcc_lo, v4, 1
	v_add_co_ci_u32_e32 v14, vcc_lo, 0, v9, vcc_lo
	v_cmp_ne_u32_e32 vcc_lo, 0, v10
	v_cndmask_b32_e32 v8, v14, v12, vcc_lo
	v_cndmask_b32_e32 v10, v13, v11, vcc_lo
	v_cmp_ne_u32_e32 vcc_lo, 0, v7
	v_cndmask_b32_e32 v8, v9, v8, vcc_lo
	v_cndmask_b32_e32 v7, v4, v10, vcc_lo
.LBB0_4:                                ;   in Loop: Header=BB0_2 Depth=1
	s_andn2_saveexec_b32 s0, s1
	s_cbranch_execz .LBB0_6
; %bb.5:                                ;   in Loop: Header=BB0_2 Depth=1
	v_cvt_f32_u32_e32 v4, s18
	s_sub_i32 s1, 0, s18
	v_rcp_iflag_f32_e32 v4, v4
	v_mul_f32_e32 v4, 0x4f7ffffe, v4
	v_cvt_u32_f32_e32 v4, v4
	v_mul_lo_u32 v7, s1, v4
	v_mul_hi_u32 v7, v4, v7
	v_add_nc_u32_e32 v4, v4, v7
	v_mul_hi_u32 v4, v5, v4
	v_mul_lo_u32 v7, v4, s18
	v_add_nc_u32_e32 v8, 1, v4
	v_sub_nc_u32_e32 v7, v5, v7
	v_subrev_nc_u32_e32 v9, s18, v7
	v_cmp_le_u32_e32 vcc_lo, s18, v7
	v_cndmask_b32_e32 v7, v7, v9, vcc_lo
	v_cndmask_b32_e32 v4, v4, v8, vcc_lo
	v_cmp_le_u32_e32 vcc_lo, s18, v7
	v_add_nc_u32_e32 v8, 1, v4
	v_cndmask_b32_e32 v7, v4, v8, vcc_lo
	v_mov_b32_e32 v8, v3
.LBB0_6:                                ;   in Loop: Header=BB0_2 Depth=1
	s_or_b32 exec_lo, exec_lo, s0
	s_load_dwordx2 s[0:1], s[6:7], 0x0
	v_mul_lo_u32 v4, v8, s18
	v_mul_lo_u32 v11, v7, s19
	v_mad_u64_u32 v[9:10], null, v7, s18, 0
	s_add_u32 s16, s16, 1
	s_addc_u32 s17, s17, 0
	s_add_u32 s6, s6, 8
	s_addc_u32 s7, s7, 0
	;; [unrolled: 2-line block ×3, first 2 shown]
	v_add3_u32 v4, v10, v11, v4
	v_sub_co_u32 v5, vcc_lo, v5, v9
	v_sub_co_ci_u32_e32 v4, vcc_lo, v6, v4, vcc_lo
	s_waitcnt lgkmcnt(0)
	v_mul_lo_u32 v6, s1, v5
	v_mul_lo_u32 v4, s0, v4
	v_mad_u64_u32 v[1:2], null, s0, v5, v[1:2]
	v_cmp_ge_u64_e64 s0, s[16:17], s[10:11]
	s_and_b32 vcc_lo, exec_lo, s0
	v_add3_u32 v2, v6, v2, v4
	s_cbranch_vccnz .LBB0_9
; %bb.7:                                ;   in Loop: Header=BB0_2 Depth=1
	v_mov_b32_e32 v5, v7
	v_mov_b32_e32 v6, v8
	s_branch .LBB0_2
.LBB0_8:
	v_mov_b32_e32 v8, v6
	v_mov_b32_e32 v7, v5
.LBB0_9:
	s_lshl_b64 s[0:1], s[10:11], 3
	v_mul_hi_u32 v3, 0x1a41a42, v0
	s_add_u32 s0, s12, s0
	s_addc_u32 s1, s13, s1
	s_load_dwordx2 s[0:1], s[0:1], 0x0
	s_load_dwordx2 s[4:5], s[4:5], 0x20
	v_mul_u32_u24_e32 v3, 0x9c, v3
	s_waitcnt lgkmcnt(0)
	v_mul_lo_u32 v4, s0, v8
	v_mul_lo_u32 v5, s1, v7
	v_mad_u64_u32 v[1:2], null, s0, v7, v[1:2]
	v_cmp_gt_u64_e32 vcc_lo, s[4:5], v[7:8]
	v_add3_u32 v2, v5, v2, v4
	v_sub_nc_u32_e32 v4, v0, v3
	v_mov_b32_e32 v5, 0
	v_lshlrev_b64 v[2:3], 2, v[1:2]
	v_mov_b32_e32 v0, v4
	s_and_saveexec_b32 s1, vcc_lo
	s_cbranch_execz .LBB0_13
; %bb.10:
	v_lshlrev_b64 v[6:7], 2, v[4:5]
	v_add_co_u32 v0, s0, s2, v2
	v_add_co_ci_u32_e64 v1, s0, s3, v3, s0
	s_mov_b32 s4, exec_lo
	v_add_co_u32 v6, s0, v0, v6
	v_add_co_ci_u32_e64 v7, s0, v1, v7, s0
	v_add_co_u32 v8, s0, 0x800, v6
	v_add_co_ci_u32_e64 v9, s0, 0, v7, s0
	;; [unrolled: 2-line block ×4, first 2 shown]
	s_clause 0xb
	global_load_dword v14, v[6:7], off
	global_load_dword v15, v[6:7], off offset:624
	global_load_dword v16, v[6:7], off offset:1248
	;; [unrolled: 1-line block ×11, first 2 shown]
	v_lshl_add_u32 v13, v4, 2, 0
	v_mov_b32_e32 v6, v5
	v_mov_b32_e32 v5, v4
	v_add_nc_u32_e32 v20, 0x400, v13
	v_add_nc_u32_e32 v21, 0x900, v13
	;; [unrolled: 1-line block ×5, first 2 shown]
	s_waitcnt vmcnt(10)
	ds_write2_b32 v13, v14, v15 offset1:156
	s_waitcnt vmcnt(8)
	ds_write2_b32 v20, v16, v7 offset0:56 offset1:212
	s_waitcnt vmcnt(6)
	ds_write2_b32 v21, v17, v18 offset0:48 offset1:204
	;; [unrolled: 2-line block ×5, first 2 shown]
	v_cmpx_eq_u32_e32 0x9b, v4
	s_cbranch_execz .LBB0_12
; %bb.11:
	v_add_co_u32 v0, s0, 0x1800, v0
	v_add_co_ci_u32_e64 v1, s0, 0, v1, s0
	v_mov_b32_e32 v5, 0x9b
	v_mov_b32_e32 v6, 0
	;; [unrolled: 1-line block ×3, first 2 shown]
	global_load_dword v0, v[0:1], off offset:1344
	v_mov_b32_e32 v1, 0
	s_waitcnt vmcnt(0)
	ds_write_b32 v1, v0 offset:7488
.LBB0_12:
	s_or_b32 exec_lo, exec_lo, s4
	v_mov_b32_e32 v0, v4
	v_mov_b32_e32 v4, v5
	;; [unrolled: 1-line block ×3, first 2 shown]
.LBB0_13:
	s_or_b32 exec_lo, exec_lo, s1
	v_lshlrev_b32_e32 v1, 2, v0
	s_waitcnt lgkmcnt(0)
	s_barrier
	buffer_gl0_inv
	v_lshlrev_b64 v[4:5], 2, v[4:5]
	v_add_nc_u32_e32 v20, 0, v1
	v_sub_nc_u32_e32 v8, 0, v1
	s_add_u32 s1, s8, 0x1d0c
	s_addc_u32 s4, s9, 0
	s_mov_b32 s5, exec_lo
	ds_read_u16 v1, v20
	ds_read_u16 v6, v8 offset:7488
	s_waitcnt lgkmcnt(0)
	v_add_f16_e32 v9, v6, v1
	v_sub_f16_e32 v10, v1, v6
	v_cmpx_ne_u32_e32 0, v0
	s_xor_b32 s5, exec_lo, s5
	s_cbranch_execz .LBB0_15
; %bb.14:
	v_add_co_u32 v9, s0, s1, v4
	v_add_co_ci_u32_e64 v10, s0, s4, v5, s0
	v_add_f16_e32 v11, v6, v1
	v_sub_f16_e32 v1, v1, v6
	global_load_dword v7, v[9:10], off
	ds_read_u16 v9, v8 offset:7490
	ds_read_u16 v10, v20 offset:2
	s_waitcnt lgkmcnt(0)
	v_add_f16_e32 v6, v9, v10
	v_sub_f16_e32 v9, v10, v9
	s_waitcnt vmcnt(0)
	v_lshrrev_b32_e32 v12, 16, v7
	v_fma_f16 v13, -v1, v12, v11
	v_fma_f16 v14, v6, v12, -v9
	v_fma_f16 v11, v1, v12, v11
	v_fma_f16 v10, v6, v12, v9
	v_fmac_f16_e32 v13, v7, v6
	v_fmac_f16_e32 v14, v1, v7
	v_fma_f16 v9, -v7, v6, v11
	v_fmac_f16_e32 v10, v1, v7
	v_pack_b32_f16 v6, v13, v14
	ds_write_b32 v8, v6 offset:7488
.LBB0_15:
	s_andn2_saveexec_b32 s0, s5
	s_cbranch_execz .LBB0_17
; %bb.16:
	v_mov_b32_e32 v1, 0
	ds_read_b32 v6, v1 offset:3744
	s_waitcnt lgkmcnt(0)
	v_pk_mul_f16 v6, 0xc0004000, v6
	ds_write_b32 v1, v6 offset:3744
.LBB0_17:
	s_or_b32 exec_lo, exec_lo, s0
	v_mov_b32_e32 v1, 0
	v_perm_b32 v9, v10, v9, 0x5040100
	v_add_nc_u32_e32 v21, 0x1200, v20
	v_add_nc_u32_e32 v22, 0x1600, v20
	v_lshlrev_b64 v[6:7], 2, v[0:1]
	v_add_co_u32 v11, s0, s1, v6
	v_add_co_ci_u32_e64 v12, s0, s4, v7, s0
	s_mov_b32 s1, exec_lo
	s_clause 0x2
	global_load_dword v1, v[11:12], off offset:624
	global_load_dword v13, v[11:12], off offset:1248
	;; [unrolled: 1-line block ×3, first 2 shown]
	v_add_co_u32 v11, s0, 0x800, v11
	v_add_co_ci_u32_e64 v12, s0, 0, v12, s0
	s_clause 0x1
	global_load_dword v15, v[11:12], off offset:448
	global_load_dword v11, v[11:12], off offset:1072
	ds_write_b32 v20, v9
	ds_read_b32 v9, v20 offset:624
	ds_read_b32 v10, v8 offset:6864
	s_waitcnt lgkmcnt(0)
	v_add_f16_e32 v12, v9, v10
	v_add_f16_sdwa v16, v10, v9 dst_sel:DWORD dst_unused:UNUSED_PAD src0_sel:WORD_1 src1_sel:WORD_1
	v_sub_f16_e32 v17, v9, v10
	v_sub_f16_sdwa v9, v9, v10 dst_sel:DWORD dst_unused:UNUSED_PAD src0_sel:WORD_1 src1_sel:WORD_1
	s_waitcnt vmcnt(4)
	v_lshrrev_b32_e32 v18, 16, v1
	v_fma_f16 v10, v17, v18, v12
	v_fma_f16 v19, v16, v18, v9
	v_fma_f16 v12, -v17, v18, v12
	v_fma_f16 v9, v16, v18, -v9
	v_fma_f16 v10, -v1, v16, v10
	v_fmac_f16_e32 v19, v17, v1
	v_fmac_f16_e32 v12, v1, v16
	;; [unrolled: 1-line block ×3, first 2 shown]
	v_pack_b32_f16 v1, v10, v19
	s_waitcnt vmcnt(3)
	v_lshrrev_b32_e32 v10, 16, v13
	v_pack_b32_f16 v9, v12, v9
	ds_write_b32 v20, v1 offset:624
	ds_write_b32 v8, v9 offset:6864
	ds_read_b32 v1, v20 offset:1248
	ds_read_b32 v9, v8 offset:6240
	s_waitcnt lgkmcnt(0)
	v_add_f16_e32 v12, v1, v9
	v_add_f16_sdwa v16, v9, v1 dst_sel:DWORD dst_unused:UNUSED_PAD src0_sel:WORD_1 src1_sel:WORD_1
	v_sub_f16_e32 v17, v1, v9
	v_sub_f16_sdwa v1, v1, v9 dst_sel:DWORD dst_unused:UNUSED_PAD src0_sel:WORD_1 src1_sel:WORD_1
	v_fma_f16 v9, v17, v10, v12
	v_fma_f16 v18, v16, v10, v1
	v_fma_f16 v12, -v17, v10, v12
	v_fma_f16 v1, v16, v10, -v1
	s_waitcnt vmcnt(2)
	v_lshrrev_b32_e32 v10, 16, v14
	v_fma_f16 v9, -v13, v16, v9
	v_fmac_f16_e32 v18, v17, v13
	v_fmac_f16_e32 v12, v13, v16
	v_fmac_f16_e32 v1, v17, v13
	v_pack_b32_f16 v9, v9, v18
	v_pack_b32_f16 v1, v12, v1
	ds_write_b32 v20, v9 offset:1248
	ds_write_b32 v8, v1 offset:6240
	ds_read_b32 v1, v20 offset:1872
	ds_read_b32 v9, v8 offset:5616
	s_waitcnt lgkmcnt(0)
	v_add_f16_e32 v12, v1, v9
	v_add_f16_sdwa v13, v9, v1 dst_sel:DWORD dst_unused:UNUSED_PAD src0_sel:WORD_1 src1_sel:WORD_1
	v_sub_f16_e32 v16, v1, v9
	v_sub_f16_sdwa v1, v1, v9 dst_sel:DWORD dst_unused:UNUSED_PAD src0_sel:WORD_1 src1_sel:WORD_1
	v_fma_f16 v9, v16, v10, v12
	v_fma_f16 v17, v13, v10, v1
	v_fma_f16 v12, -v16, v10, v12
	v_fma_f16 v1, v13, v10, -v1
	s_waitcnt vmcnt(1)
	v_lshrrev_b32_e32 v10, 16, v15
	v_fma_f16 v9, -v14, v13, v9
	v_fmac_f16_e32 v17, v16, v14
	v_fmac_f16_e32 v12, v14, v13
	v_fmac_f16_e32 v1, v16, v14
	v_pack_b32_f16 v9, v9, v17
	;; [unrolled: 21-line block ×3, first 2 shown]
	v_pack_b32_f16 v1, v12, v1
	ds_write_b32 v20, v9 offset:2496
	ds_write_b32 v8, v1 offset:4992
	ds_read_b32 v1, v20 offset:3120
	ds_read_b32 v9, v8 offset:4368
	s_waitcnt lgkmcnt(0)
	v_add_f16_e32 v12, v1, v9
	v_add_f16_sdwa v13, v9, v1 dst_sel:DWORD dst_unused:UNUSED_PAD src0_sel:WORD_1 src1_sel:WORD_1
	v_sub_f16_e32 v14, v1, v9
	v_sub_f16_sdwa v1, v1, v9 dst_sel:DWORD dst_unused:UNUSED_PAD src0_sel:WORD_1 src1_sel:WORD_1
	v_fma_f16 v9, v14, v10, v12
	v_fma_f16 v15, v13, v10, v1
	v_fma_f16 v12, -v14, v10, v12
	v_fma_f16 v10, v13, v10, -v1
	v_add_nc_u32_e32 v1, 0x400, v20
	v_fma_f16 v9, -v11, v13, v9
	v_fmac_f16_e32 v15, v14, v11
	v_fmac_f16_e32 v12, v11, v13
	;; [unrolled: 1-line block ×3, first 2 shown]
	v_add_nc_u32_e32 v11, 0x800, v20
	v_pack_b32_f16 v9, v9, v15
	v_pack_b32_f16 v10, v12, v10
	v_add_nc_u32_e32 v12, 0xc00, v20
	ds_write_b32 v20, v9 offset:3120
	ds_write_b32 v8, v10 offset:4368
	s_waitcnt lgkmcnt(0)
	s_barrier
	buffer_gl0_inv
	s_barrier
	buffer_gl0_inv
	ds_read2_b32 v[8:9], v20 offset1:144
	ds_read2_b32 v[18:19], v1 offset0:32 offset1:176
	ds_read2_b32 v[16:17], v11 offset0:64 offset1:208
	;; [unrolled: 1-line block ×3, first 2 shown]
	ds_read2_b32 v[12:13], v21 offset1:144
	ds_read2_b32 v[10:11], v22 offset0:32 offset1:176
	ds_read_b32 v29, v20 offset:6912
	s_waitcnt lgkmcnt(0)
	s_barrier
	buffer_gl0_inv
	v_cmpx_gt_u32_e32 0x90, v0
	s_cbranch_execz .LBB0_19
; %bb.18:
	v_pk_add_f16 v23, v8, v9
	v_pk_add_f16 v28, v29, v9
	v_pk_add_f16 v22, v9, v29 neg_lo:[0,1] neg_hi:[0,1]
	v_mov_b32_e32 v30, 0x388b
	v_pk_add_f16 v27, v11, v18
	v_pk_add_f16 v9, v23, v18
	v_mov_b32_e32 v31, 0xb5ac
	v_pk_add_f16 v18, v18, v11 neg_lo:[0,1] neg_hi:[0,1]
	v_mul_f16_sdwa v35, v28, v30 dst_sel:DWORD dst_unused:UNUSED_PAD src0_sel:WORD_1 src1_sel:DWORD
	v_pk_add_f16 v24, v10, v19
	v_pk_add_f16 v9, v9, v19
	v_mov_b32_e32 v32, 0xbbc4
	v_mul_f16_sdwa v37, v27, v31 dst_sel:DWORD dst_unused:UNUSED_PAD src0_sel:WORD_1 src1_sel:DWORD
	v_fmamk_f16 v38, v22, 0x3a95, v35
	v_pk_add_f16 v19, v19, v10 neg_lo:[0,1] neg_hi:[0,1]
	v_pk_add_f16 v9, v9, v16
	v_pk_add_f16 v25, v13, v16
	v_mov_b32_e32 v33, 0xb9fd
	v_pk_add_f16 v23, v16, v13 neg_lo:[0,1] neg_hi:[0,1]
	v_pk_add_f16 v26, v12, v17
	v_pk_add_f16 v9, v9, v17
	v_pk_add_f16 v16, v17, v12 neg_lo:[0,1] neg_hi:[0,1]
	v_pk_add_f16 v17, v15, v14
	v_mul_f16_sdwa v40, v24, v32 dst_sel:DWORD dst_unused:UNUSED_PAD src0_sel:WORD_1 src1_sel:DWORD
	v_add_f16_sdwa v38, v8, v38 dst_sel:DWORD dst_unused:UNUSED_PAD src0_sel:WORD_1 src1_sel:DWORD
	v_pk_add_f16 v39, v9, v14
	v_pk_add_f16 v9, v14, v15 neg_lo:[0,1] neg_hi:[0,1]
	v_fmamk_f16 v14, v18, 0x3b7b, v37
	v_mov_b32_e32 v34, 0x2fb7
	v_mul_f16_sdwa v41, v25, v33 dst_sel:DWORD dst_unused:UNUSED_PAD src0_sel:WORD_1 src1_sel:DWORD
	v_pk_add_f16 v15, v39, v15
	v_fmamk_f16 v42, v19, 0x33a8, v40
	v_add_f16_e32 v38, v14, v38
	v_mov_b32_e32 v36, 0x3b15
	v_fmamk_f16 v43, v23, 0xb94e, v41
	v_pk_add_f16 v12, v15, v12
	v_mul_f16_sdwa v15, v26, v34 dst_sel:DWORD dst_unused:UNUSED_PAD src0_sel:WORD_1 src1_sel:DWORD
	v_add_f16_e32 v38, v42, v38
	v_mul_f16_sdwa v44, v28, v34 dst_sel:DWORD dst_unused:UNUSED_PAD src0_sel:WORD_1 src1_sel:DWORD
	v_mov_b32_e32 v39, 0xbbf1
	v_pk_add_f16 v12, v12, v13
	v_mul_f16_sdwa v42, v17, v36 dst_sel:DWORD dst_unused:UNUSED_PAD src0_sel:WORD_1 src1_sel:DWORD
	v_fmamk_f16 v13, v16, 0xbbf1, v15
	v_add_f16_e32 v38, v43, v38
	v_mul_f16_sdwa v43, v27, v32 dst_sel:DWORD dst_unused:UNUSED_PAD src0_sel:WORD_1 src1_sel:DWORD
	v_pk_add_f16 v10, v12, v10
	v_fmamk_f16 v12, v22, 0x3bf1, v44
	v_mov_b32_e32 v14, 0xb3a8
	v_fmamk_f16 v45, v9, 0xb770, v42
	v_add_f16_e32 v13, v13, v38
	v_pk_add_f16 v10, v10, v11
	v_fmamk_f16 v38, v18, 0x33a8, v43
	v_add_f16_sdwa v12, v8, v12 dst_sel:DWORD dst_unused:UNUSED_PAD src0_sel:WORD_1 src1_sel:DWORD
	v_mul_f16_sdwa v46, v22, v39 dst_sel:DWORD dst_unused:UNUSED_PAD src0_sel:WORD_1 src1_sel:DWORD
	v_add_f16_e32 v11, v45, v13
	v_pk_add_f16 v10, v10, v29
	v_mul_f16_sdwa v29, v24, v31 dst_sel:DWORD dst_unused:UNUSED_PAD src0_sel:WORD_1 src1_sel:DWORD
	v_add_f16_e32 v12, v38, v12
	v_fmamk_f16 v13, v28, 0x2fb7, v46
	v_mul_f16_sdwa v38, v18, v14 dst_sel:DWORD dst_unused:UNUSED_PAD src0_sel:WORD_1 src1_sel:DWORD
	v_mov_b32_e32 v45, 0x3b7b
	v_fmamk_f16 v47, v19, 0xbb7b, v29
	v_mul_f16_sdwa v48, v25, v36 dst_sel:DWORD dst_unused:UNUSED_PAD src0_sel:WORD_1 src1_sel:DWORD
	v_add_f16_e32 v13, v8, v13
	v_fmamk_f16 v49, v27, 0xbbc4, v38
	v_mul_f16_sdwa v45, v19, v45 dst_sel:DWORD dst_unused:UNUSED_PAD src0_sel:WORD_1 src1_sel:DWORD
	v_add_f16_e32 v12, v47, v12
	v_fmamk_f16 v50, v23, 0xb770, v48
	v_mul_f16_sdwa v47, v28, v31 dst_sel:DWORD dst_unused:UNUSED_PAD src0_sel:WORD_1 src1_sel:DWORD
	v_add_f16_e32 v13, v49, v13
	v_mov_b32_e32 v49, 0x3770
	v_fmamk_f16 v51, v24, 0xb5ac, v45
	v_add_f16_e32 v12, v50, v12
	v_fmamk_f16 v52, v22, 0x3b7b, v47
	v_mul_f16_sdwa v53, v27, v33 dst_sel:DWORD dst_unused:UNUSED_PAD src0_sel:WORD_1 src1_sel:DWORD
	v_mul_f16_sdwa v50, v23, v49 dst_sel:DWORD dst_unused:UNUSED_PAD src0_sel:WORD_1 src1_sel:DWORD
	v_add_f16_e32 v13, v51, v13
	v_mov_b32_e32 v54, 0xba95
	v_add_f16_sdwa v52, v8, v52 dst_sel:DWORD dst_unused:UNUSED_PAD src0_sel:WORD_1 src1_sel:DWORD
	v_fmamk_f16 v55, v18, 0xb94e, v53
	v_fmamk_f16 v51, v25, 0x3b15, v50
	v_mul_f16_sdwa v56, v24, v36 dst_sel:DWORD dst_unused:UNUSED_PAD src0_sel:WORD_1 src1_sel:DWORD
	v_mul_f16_sdwa v57, v16, v54 dst_sel:DWORD dst_unused:UNUSED_PAD src0_sel:WORD_1 src1_sel:DWORD
	v_mul_f16_sdwa v58, v25, v34 dst_sel:DWORD dst_unused:UNUSED_PAD src0_sel:WORD_1 src1_sel:DWORD
	v_add_f16_e32 v52, v55, v52
	v_add_f16_e32 v13, v51, v13
	v_mov_b32_e32 v51, 0xbb7b
	v_fmamk_f16 v55, v19, 0xb770, v56
	v_mov_b32_e32 v62, 0x394e
	v_fmamk_f16 v59, v26, 0x388b, v57
	v_fmamk_f16 v60, v23, 0x3bf1, v58
	v_mul_f16_sdwa v61, v22, v51 dst_sel:DWORD dst_unused:UNUSED_PAD src0_sel:WORD_1 src1_sel:DWORD
	v_add_f16_e32 v52, v55, v52
	v_mov_b32_e32 v55, 0xb94e
	v_mul_f16_sdwa v63, v26, v32 dst_sel:DWORD dst_unused:UNUSED_PAD src0_sel:WORD_1 src1_sel:DWORD
	v_mul_f16_sdwa v62, v18, v62 dst_sel:DWORD dst_unused:UNUSED_PAD src0_sel:WORD_1 src1_sel:DWORD
	v_fmamk_f16 v64, v28, 0xb5ac, v61
	v_add_f16_e32 v13, v59, v13
	v_mul_f16_sdwa v59, v9, v55 dst_sel:DWORD dst_unused:UNUSED_PAD src0_sel:WORD_1 src1_sel:DWORD
	v_add_f16_e32 v52, v60, v52
	v_fmamk_f16 v65, v16, 0xb3a8, v63
	v_add_f16_e32 v64, v8, v64
	v_fmamk_f16 v66, v27, 0xb9fd, v62
	v_mul_f16_sdwa v67, v19, v49 dst_sel:DWORD dst_unused:UNUSED_PAD src0_sel:WORD_1 src1_sel:DWORD
	v_fmamk_f16 v60, v17, 0xb9fd, v59
	v_add_f16_e32 v52, v65, v52
	v_mov_b32_e32 v68, 0x33a8
	v_add_f16_e32 v64, v66, v64
	v_fmamk_f16 v65, v24, 0x3b15, v67
	v_mul_f16_sdwa v66, v23, v39 dst_sel:DWORD dst_unused:UNUSED_PAD src0_sel:WORD_1 src1_sel:DWORD
	v_mul_f16_sdwa v70, v28, v33 dst_sel:DWORD dst_unused:UNUSED_PAD src0_sel:WORD_1 src1_sel:DWORD
	v_add_f16_e32 v13, v60, v13
	v_mul_f16_sdwa v60, v17, v30 dst_sel:DWORD dst_unused:UNUSED_PAD src0_sel:WORD_1 src1_sel:DWORD
	v_add_f16_e32 v64, v65, v64
	v_fmamk_f16 v65, v25, 0x2fb7, v66
	v_mul_f16_sdwa v71, v16, v68 dst_sel:DWORD dst_unused:UNUSED_PAD src0_sel:WORD_1 src1_sel:DWORD
	v_mov_b32_e32 v72, 0x3a95
	v_fmamk_f16 v73, v22, 0x394e, v70
	v_mul_f16_sdwa v34, v27, v34 dst_sel:DWORD dst_unused:UNUSED_PAD src0_sel:WORD_1 src1_sel:DWORD
	v_fmamk_f16 v69, v9, 0xba95, v60
	v_add_f16_e32 v64, v65, v64
	v_fmamk_f16 v65, v26, 0xbbc4, v71
	v_mul_f16_sdwa v72, v9, v72 dst_sel:DWORD dst_unused:UNUSED_PAD src0_sel:WORD_1 src1_sel:DWORD
	v_add_f16_sdwa v73, v8, v73 dst_sel:DWORD dst_unused:UNUSED_PAD src0_sel:WORD_1 src1_sel:DWORD
	v_fmamk_f16 v74, v18, 0xbbf1, v34
	v_add_f16_e32 v52, v69, v52
	v_add_f16_e32 v64, v65, v64
	v_fmamk_f16 v69, v17, 0x388b, v72
	v_mov_b32_e32 v75, 0x3bf1
	v_add_f16_e32 v73, v74, v73
	v_mul_f16_sdwa v74, v22, v55 dst_sel:DWORD dst_unused:UNUSED_PAD src0_sel:WORD_1 src1_sel:DWORD
	v_fmac_f16_e32 v70, 0xb94e, v22
	v_mul_f16_sdwa v65, v24, v30 dst_sel:DWORD dst_unused:UNUSED_PAD src0_sel:WORD_1 src1_sel:DWORD
	v_add_f16_e32 v64, v69, v64
	v_mul_f16_sdwa v75, v18, v75 dst_sel:DWORD dst_unused:UNUSED_PAD src0_sel:WORD_1 src1_sel:DWORD
	v_fmamk_f16 v69, v28, 0xb9fd, v74
	v_add_f16_sdwa v70, v8, v70 dst_sel:DWORD dst_unused:UNUSED_PAD src0_sel:WORD_1 src1_sel:DWORD
	v_fmac_f16_e32 v34, 0x3bf1, v18
	v_fma_f16 v74, v28, 0xb9fd, -v74
	v_fmamk_f16 v76, v19, 0x3a95, v65
	v_mul_f16_sdwa v32, v25, v32 dst_sel:DWORD dst_unused:UNUSED_PAD src0_sel:WORD_1 src1_sel:DWORD
	v_mul_f16_sdwa v78, v19, v54 dst_sel:DWORD dst_unused:UNUSED_PAD src0_sel:WORD_1 src1_sel:DWORD
	v_add_f16_e32 v34, v34, v70
	v_fmac_f16_e32 v65, 0xba95, v19
	v_add_f16_e32 v70, v8, v74
	v_fma_f16 v74, v27, 0x2fb7, -v75
	v_add_f16_e32 v73, v76, v73
	v_fmamk_f16 v76, v23, 0xb3a8, v32
	v_mul_f16_sdwa v36, v26, v36 dst_sel:DWORD dst_unused:UNUSED_PAD src0_sel:WORD_1 src1_sel:DWORD
	v_mul_f16_sdwa v68, v23, v68 dst_sel:DWORD dst_unused:UNUSED_PAD src0_sel:WORD_1 src1_sel:DWORD
	v_add_f16_e32 v34, v65, v34
	v_fmac_f16_e32 v32, 0x33a8, v23
	v_add_f16_e32 v65, v74, v70
	v_fma_f16 v70, v24, 0x388b, -v78
	v_fmac_f16_e32 v47, 0xbb7b, v22
	v_add_f16_e32 v73, v76, v73
	v_fmamk_f16 v76, v16, 0xb770, v36
	v_mul_f16_sdwa v31, v17, v31 dst_sel:DWORD dst_unused:UNUSED_PAD src0_sel:WORD_1 src1_sel:DWORD
	v_mul_f16_sdwa v49, v16, v49 dst_sel:DWORD dst_unused:UNUSED_PAD src0_sel:WORD_1 src1_sel:DWORD
	v_add_f16_e32 v32, v32, v34
	v_fmac_f16_e32 v36, 0x3770, v16
	v_add_f16_e32 v34, v70, v65
	v_fma_f16 v65, v25, 0xbbc4, -v68
	v_add_f16_sdwa v47, v8, v47 dst_sel:DWORD dst_unused:UNUSED_PAD src0_sel:WORD_1 src1_sel:DWORD
	v_fmac_f16_e32 v53, 0x394e, v18
	v_add_f16_e32 v73, v76, v73
	v_fmamk_f16 v76, v9, 0x3b7b, v31
	v_add_f16_e32 v32, v36, v32
	v_fmac_f16_e32 v31, 0xbb7b, v9
	v_add_f16_e32 v34, v65, v34
	v_fma_f16 v36, v26, 0x3b15, -v49
	v_add_f16_e32 v47, v53, v47
	v_fmac_f16_e32 v56, 0x3770, v19
	v_fma_f16 v53, v28, 0xb5ac, -v61
	v_add_f16_e32 v31, v31, v32
	v_add_f16_e32 v32, v36, v34
	v_fmac_f16_e32 v44, 0xbbf1, v22
	v_add_f16_e32 v34, v56, v47
	v_add_f16_e32 v36, v8, v53
	v_fma_f16 v47, v27, 0xb9fd, -v62
	v_fmac_f16_e32 v43, 0xb3a8, v18
	v_add_f16_sdwa v44, v8, v44 dst_sel:DWORD dst_unused:UNUSED_PAD src0_sel:WORD_1 src1_sel:DWORD
	v_fmamk_f16 v77, v27, 0x2fb7, v75
	v_mul_f16_sdwa v75, v9, v51 dst_sel:DWORD dst_unused:UNUSED_PAD src0_sel:WORD_1 src1_sel:DWORD
	v_add_f16_e32 v36, v47, v36
	v_fma_f16 v47, v24, 0x3b15, -v67
	v_add_f16_e32 v43, v43, v44
	v_fma_f16 v44, v26, 0xbbc4, -v71
	v_fmac_f16_e32 v29, 0x3b7b, v19
	v_fma_f16 v53, v17, 0xb5ac, -v75
	v_add_f16_e32 v36, v47, v36
	v_fma_f16 v47, v25, 0x2fb7, -v66
	v_fmac_f16_e32 v48, 0x3770, v23
	v_add_f16_e32 v29, v29, v43
	v_mul_f16_sdwa v30, v26, v30 dst_sel:DWORD dst_unused:UNUSED_PAD src0_sel:WORD_1 src1_sel:DWORD
	v_pk_mul_f16 v43, 0x3b15388b, v28
	v_add_f16_e32 v36, v47, v36
	v_fma_f16 v38, v27, 0xbbc4, -v38
	v_add_f16_e32 v32, v53, v32
	v_add_f16_e32 v29, v48, v29
	v_mul_f16_sdwa v33, v17, v33 dst_sel:DWORD dst_unused:UNUSED_PAD src0_sel:WORD_1 src1_sel:DWORD
	v_add_f16_e32 v36, v44, v36
	v_fma_f16 v44, v28, 0x2fb7, -v46
	v_fmamk_f16 v46, v16, 0x3a95, v30
	v_fmac_f16_e32 v30, 0xba95, v16
	v_pk_fma_f16 v47, 0xba95b770, v22, v43 op_sel:[0,0,1] op_sel_hi:[1,1,0]
	v_fma_f16 v48, v17, 0x388b, -v72
	v_add_f16_e32 v44, v8, v44
	v_pk_mul_f16 v53, 0x388bb5ac, v27
	v_add_f16_e32 v29, v30, v29
	v_fmamk_f16 v30, v9, 0xb94e, v33
	v_add_f16_e32 v36, v48, v36
	v_add_f16_e32 v38, v38, v44
	v_fma_f16 v44, v24, 0xb5ac, -v45
	v_pk_add_f16 v45, v8, v47 op_sel:[1,0] op_sel_hi:[0,1]
	v_pk_fma_f16 v48, 0xbb7bba95, v18, v53 op_sel:[0,0,1] op_sel_hi:[1,1,0]
	v_pk_mul_f16 v56, 0x2fb7bbc4, v24
	v_fmac_f16_e32 v35, 0xba95, v22
	v_add_f16_e32 v38, v44, v38
	v_fma_f16 v44, v25, 0x3b15, -v50
	v_pk_add_f16 v45, v48, v45
	v_pk_fma_f16 v50, 0xb3a8bbf1, v19, v56 op_sel:[0,0,1] op_sel_hi:[1,1,0]
	v_add_f16_e32 v29, v30, v29
	v_add_f16_sdwa v35, v8, v35 dst_sel:DWORD dst_unused:UNUSED_PAD src0_sel:WORD_1 src1_sel:DWORD
	v_add_f16_e32 v30, v44, v38
	v_pk_fma_f16 v38, 0xba95b770, v22, v43 op_sel:[0,0,1] op_sel_hi:[1,1,0] neg_lo:[0,1,0] neg_hi:[0,1,0]
	v_fmac_f16_e32 v37, 0xbb7b, v18
	v_pk_add_f16 v43, v50, v45
	v_pk_mul_f16 v44, 0xb5acb9fd, v25
	v_fmac_f16_e32 v40, 0xb3a8, v19
	v_bfi_b32 v45, 0xffff, v47, v38
	v_pk_fma_f16 v47, 0xbb7bba95, v18, v53 op_sel:[0,0,1] op_sel_hi:[1,1,0] neg_lo:[0,1,0] neg_hi:[0,1,0]
	v_add_f16_e32 v35, v37, v35
	v_fma_f16 v37, v26, 0x388b, -v57
	v_pk_fma_f16 v53, 0xb3a8bbf1, v19, v56 op_sel:[0,0,1] op_sel_hi:[1,1,0] neg_lo:[0,1,0] neg_hi:[0,1,0]
	v_pk_add_f16 v45, v8, v45 op_sel:[1,0] op_sel_hi:[0,1]
	v_bfi_b32 v48, 0xffff, v48, v47
	v_add_f16_e32 v35, v40, v35
	v_add_f16_e32 v30, v37, v30
	v_pk_fma_f16 v37, 0x394ebb7b, v23, v44 op_sel:[0,0,1] op_sel_hi:[1,1,0]
	v_fmac_f16_e32 v41, 0x394e, v23
	v_pk_add_f16 v45, v48, v45
	v_bfi_b32 v50, 0xffff, v50, v53
	v_pk_fma_f16 v44, 0x394ebb7b, v23, v44 op_sel:[0,0,1] op_sel_hi:[1,1,0] neg_lo:[0,1,0] neg_hi:[0,1,0]
	v_add_f16_sdwa v38, v8, v38 dst_sel:DWORD dst_unused:UNUSED_PAD src0_sel:WORD_1 src1_sel:DWORD
	v_pk_mul_f16 v40, 0xb9fd2fb7, v26
	v_pk_add_f16 v43, v37, v43
	v_add_f16_e32 v35, v41, v35
	v_fmac_f16_e32 v15, 0x3bf1, v16
	v_pk_add_f16 v45, v50, v45
	v_bfi_b32 v37, 0xffff, v37, v44
	v_mov_b32_e32 v50, 0xb770
	v_add_f16_e32 v38, v47, v38
	v_pk_fma_f16 v48, 0x3bf1b94e, v16, v40 op_sel:[0,0,1] op_sel_hi:[1,1,0]
	v_pk_mul_f16 v41, 0xbbc43b15, v17
	v_fma_f16 v56, v17, 0xb9fd, -v59
	v_pk_fma_f16 v40, 0x3bf1b94e, v16, v40 op_sel:[0,0,1] op_sel_hi:[1,1,0] neg_lo:[0,1,0] neg_hi:[0,1,0]
	v_add_f16_e32 v15, v15, v35
	v_pk_add_f16 v35, v37, v45
	v_mul_f16_sdwa v37, v22, v50 dst_sel:DWORD dst_unused:UNUSED_PAD src0_sel:WORD_1 src1_sel:DWORD
	v_add_f16_e32 v38, v53, v38
	v_add_f16_e32 v30, v56, v30
	v_bfi_b32 v45, 0xffff, v48, v40
	v_pk_fma_f16 v50, 0x3770b3a8, v9, v41 op_sel:[0,0,1] op_sel_hi:[1,1,0]
	v_pk_fma_f16 v56, 0x3770b3a8, v9, v41 op_sel:[0,0,1] op_sel_hi:[1,1,0] neg_lo:[0,1,0] neg_hi:[0,1,0]
	v_fmac_f16_e32 v42, 0x3770, v9
	v_fma_f16 v57, v28, 0x3b15, -v37
	v_mul_f16_sdwa v54, v18, v54 dst_sel:DWORD dst_unused:UNUSED_PAD src0_sel:WORD_1 src1_sel:DWORD
	v_fmac_f16_e32 v37, 0x3b15, v28
	v_add_f16_e32 v38, v44, v38
	v_pk_mul_f16 v28, 0xbbc4, v28 op_sel_hi:[0,1]
	v_add_f16_e32 v69, v8, v69
	v_pk_add_f16 v35, v45, v35
	v_bfi_b32 v45, 0xffff, v50, v56
	v_add_f16_e32 v15, v42, v15
	v_add_f16_e32 v42, v8, v57
	v_fma_f16 v50, v27, 0x388b, -v54
	v_mul_f16_sdwa v39, v19, v39 dst_sel:DWORD dst_unused:UNUSED_PAD src0_sel:WORD_1 src1_sel:DWORD
	v_fmac_f16_e32 v54, 0x388b, v27
	v_add_f16_e32 v38, v40, v38
	v_pk_fma_f16 v40, 0xb3a8, v22, v28 op_sel:[0,0,1] op_sel_hi:[0,1,0] neg_lo:[0,1,0] neg_hi:[0,1,0]
	v_pk_mul_f16 v27, 0x3b15, v27 op_sel_hi:[0,1]
	v_add_f16_e32 v69, v77, v69
	v_fmamk_f16 v77, v24, 0x388b, v78
	v_add_f16_e32 v42, v50, v42
	v_fma_f16 v50, v24, 0x2fb7, -v39
	v_mul_f16_sdwa v51, v23, v51 dst_sel:DWORD dst_unused:UNUSED_PAD src0_sel:WORD_1 src1_sel:DWORD
	v_fmac_f16_e32 v39, 0x2fb7, v24
	v_pk_fma_f16 v22, 0xb3a8, v22, v28 op_sel:[0,0,1] op_sel_hi:[0,1,0]
	v_pk_add_f16 v28, v8, v40 op_sel:[1,0] op_sel_hi:[0,1]
	v_pk_fma_f16 v40, 0x3770, v18, v27 op_sel:[0,0,1] op_sel_hi:[0,1,0] neg_lo:[0,1,0] neg_hi:[0,1,0]
	v_pk_mul_f16 v24, 0xb9fd, v24 op_sel_hi:[0,1]
	v_add_f16_e32 v69, v77, v69
	v_fmamk_f16 v77, v25, 0xbbc4, v68
	v_add_f16_e32 v37, v8, v37
	v_add_f16_e32 v42, v50, v42
	v_fma_f16 v50, v25, 0xb5ac, -v51
	v_fmac_f16_e32 v51, 0xb5ac, v25
	v_pk_add_f16 v8, v8, v22 op_sel:[1,0] op_sel_hi:[0,1]
	v_pk_fma_f16 v18, 0x3770, v18, v27 op_sel:[0,0,1] op_sel_hi:[0,1,0]
	v_pk_add_f16 v22, v40, v28
	v_pk_fma_f16 v27, 0xb94e, v19, v24 op_sel:[0,0,1] op_sel_hi:[0,1,0] neg_lo:[0,1,0] neg_hi:[0,1,0]
	v_pk_mul_f16 v25, 0x388b, v25 op_sel_hi:[0,1]
	v_mul_f16_sdwa v55, v16, v55 dst_sel:DWORD dst_unused:UNUSED_PAD src0_sel:WORD_1 src1_sel:DWORD
	v_pk_add_f16 v8, v18, v8
	v_pk_fma_f16 v18, 0xb94e, v19, v24 op_sel:[0,0,1] op_sel_hi:[0,1,0]
	v_pk_add_f16 v19, v27, v22
	v_pk_fma_f16 v22, 0x3a95, v23, v25 op_sel:[0,0,1] op_sel_hi:[0,1,0] neg_lo:[0,1,0] neg_hi:[0,1,0]
	v_pk_mul_f16 v24, 0xb5ac, v26 op_sel_hi:[0,1]
	v_fmac_f16_e32 v58, 0xbbf1, v23
	v_mul_f16_e32 v53, 0xb94e, v9
	v_pk_add_f16 v8, v18, v8
	v_pk_fma_f16 v18, 0x3a95, v23, v25 op_sel:[0,0,1] op_sel_hi:[0,1,0]
	v_pk_add_f16 v19, v22, v19
	v_pk_fma_f16 v22, 0xbb7b, v16, v24 op_sel:[0,0,1] op_sel_hi:[0,1,0] neg_lo:[0,1,0] neg_hi:[0,1,0]
	v_add_f16_e32 v37, v54, v37
	v_add_f16_e32 v42, v50, v42
	v_fma_f16 v50, v26, 0xb9fd, -v55
	v_mul_f16_sdwa v14, v9, v14 dst_sel:DWORD dst_unused:UNUSED_PAD src0_sel:WORD_1 src1_sel:DWORD
	v_add_f16_e32 v34, v58, v34
	v_fmac_f16_e32 v63, 0x33a8, v16
	v_pk_mul_f16 v47, 0x3770b3a8, v9
	v_pk_add_f16 v8, v18, v8
	v_pk_fma_f16 v16, 0xbb7b, v16, v24 op_sel:[0,0,1] op_sel_hi:[0,1,0]
	v_pk_add_f16 v19, v22, v19
	v_bfi_b32 v22, 0xffff, v53, v43
	v_add_f16_e32 v37, v39, v37
	v_fmamk_f16 v74, v17, 0xb5ac, v75
	v_add_f16_e32 v39, v50, v42
	v_fma_f16 v42, v17, 0xbbc4, -v14
	v_fmac_f16_e32 v14, 0xbbc4, v17
	v_pk_mul_f16 v17, 0x2fb7, v17 op_sel_hi:[0,1]
	v_add_f16_e32 v73, v76, v73
	v_add_f16_e32 v69, v77, v69
	v_fmamk_f16 v76, v26, 0x3b15, v49
	v_add_f16_e32 v34, v63, v34
	v_fmac_f16_e32 v60, 0x3a95, v9
	v_pk_add_f16 v8, v16, v8
	v_pack_b32_f16 v16, v46, v41
	v_bfi_b32 v12, 0xffff, v12, v47
	v_pk_add_f16 v22, v33, v22 neg_lo:[0,1] neg_hi:[0,1]
	v_pk_add_f16 v25, v48, v43
	v_add_f16_e32 v37, v51, v37
	v_fmac_f16_e32 v55, 0xb9fd, v26
	v_pk_add_f16 v35, v45, v35
	v_add_f16_e32 v39, v42, v39
	v_pk_fma_f16 v24, 0x3bf1, v9, v17 op_sel:[0,0,1] op_sel_hi:[0,1,0] neg_lo:[0,1,0] neg_hi:[0,1,0]
	v_pk_fma_f16 v9, 0x3bf1, v9, v17 op_sel:[0,0,1] op_sel_hi:[0,1,0]
	v_add_f16_e32 v69, v76, v69
	v_add_f16_e32 v34, v60, v34
	v_pk_add_f16 v12, v16, v12
	v_bfi_b32 v16, 0xffff, v22, v25
	v_add_f16_e32 v37, v55, v37
	v_mad_u32_u24 v45, v0, 48, v20
	v_alignbit_b32 v15, v15, v35, 16
	v_pack_b32_f16 v23, v39, v35
	v_pk_add_f16 v19, v24, v19
	v_pk_add_f16 v8, v9, v8
	v_add_f16_e32 v49, v74, v69
	v_pack_b32_f16 v18, v36, v34
	v_pack_b32_f16 v17, v30, v29
	v_pk_add_f16 v12, v16, v12
	v_add_f16_e32 v38, v56, v38
	v_add_f16_e32 v14, v14, v37
	v_pack_b32_f16 v9, v32, v31
	ds_write2_b32 v45, v23, v15 offset0:1 offset1:2
	ds_write2_b32 v45, v17, v18 offset0:3 offset1:4
	v_alignbit_b32 v15, v19, v8, 16
	v_alignbit_b32 v8, v8, v19, 16
	v_pack_b32_f16 v16, v64, v52
	v_pack_b32_f16 v17, v49, v73
	v_alignbit_b32 v11, v11, v12, 16
	v_pack_b32_f16 v12, v13, v12
	v_pack_b32_f16 v13, v14, v38
	ds_write2_b32 v45, v10, v9 offset1:5
	ds_write2_b32 v45, v8, v15 offset0:6 offset1:7
	ds_write2_b32 v45, v17, v16 offset0:8 offset1:9
	;; [unrolled: 1-line block ×3, first 2 shown]
	ds_write_b32 v45, v13 offset:48
.LBB0_19:
	s_or_b32 exec_lo, exec_lo, s1
	v_and_b32_e32 v19, 0xff, v0
	v_add_nc_u32_e32 v34, 0x9c, v0
	v_mov_b32_e32 v8, 0x4ec5
	v_add_nc_u32_e32 v35, 0x138, v0
	v_mov_b32_e32 v38, 3
	v_mul_lo_u16 v9, 0x4f, v19
	s_waitcnt lgkmcnt(0)
	v_mul_u32_u24_sdwa v10, v34, v8 dst_sel:DWORD dst_unused:UNUSED_PAD src0_sel:WORD_0 src1_sel:DWORD
	v_mul_u32_u24_sdwa v11, v35, v8 dst_sel:DWORD dst_unused:UNUSED_PAD src0_sel:WORD_0 src1_sel:DWORD
	s_barrier
	v_lshrrev_b16 v36, 10, v9
	v_add_nc_u32_e32 v9, 0x1d4, v0
	v_lshrrev_b32_e32 v37, 18, v10
	v_lshrrev_b32_e32 v39, 18, v11
	buffer_gl0_inv
	v_mul_lo_u16 v10, v36, 13
	v_mul_u32_u24_sdwa v8, v9, v8 dst_sel:DWORD dst_unused:UNUSED_PAD src0_sel:WORD_0 src1_sel:DWORD
	v_mul_lo_u16 v11, v37, 13
	v_mul_lo_u16 v19, 0xa5, v19
	v_mov_b32_e32 v46, 0x9c
	v_sub_nc_u16 v40, v0, v10
	v_lshrrev_b32_e32 v41, 18, v8
	v_mul_lo_u16 v8, v39, 13
	v_sub_nc_u16 v42, v34, v11
	v_lshrrev_b16 v19, 8, v19
	v_lshlrev_b32_sdwa v10, v38, v40 dst_sel:DWORD dst_unused:UNUSED_PAD src0_sel:DWORD src1_sel:BYTE_0
	v_mul_lo_u16 v13, v41, 13
	v_sub_nc_u16 v43, v35, v8
	v_lshlrev_b32_sdwa v8, v38, v42 dst_sel:DWORD dst_unused:UNUSED_PAD src0_sel:DWORD src1_sel:WORD_0
	v_mov_b32_e32 v30, 0xa41b
	global_load_dwordx2 v[11:12], v10, s[8:9]
	v_sub_nc_u16 v44, v9, v13
	v_lshlrev_b32_sdwa v9, v38, v43 dst_sel:DWORD dst_unused:UNUSED_PAD src0_sel:DWORD src1_sel:WORD_0
	global_load_dwordx2 v[13:14], v8, s[8:9]
	v_mul_u32_u24_sdwa v36, v36, v46 dst_sel:DWORD dst_unused:UNUSED_PAD src0_sel:WORD_0 src1_sel:DWORD
	v_sub_nc_u16 v46, v0, v19
	v_lshlrev_b32_sdwa v8, v38, v44 dst_sel:DWORD dst_unused:UNUSED_PAD src0_sel:DWORD src1_sel:WORD_0
	v_mul_u32_u24_sdwa v48, v34, v30 dst_sel:DWORD dst_unused:UNUSED_PAD src0_sel:WORD_0 src1_sel:DWORD
	v_mul_u32_u24_sdwa v49, v35, v30 dst_sel:DWORD dst_unused:UNUSED_PAD src0_sel:WORD_0 src1_sel:DWORD
	s_clause 0x1
	global_load_dwordx2 v[15:16], v9, s[8:9]
	global_load_dwordx2 v[17:18], v8, s[8:9]
	v_lshrrev_b16 v46, 1, v46
	v_lshrrev_b32_e32 v48, 16, v48
	v_add_nc_u32_e32 v8, 0x900, v20
	v_lshrrev_b32_e32 v49, 16, v49
	v_add_nc_u32_e32 v10, 0xe00, v20
	v_and_b32_e32 v46, 0x7f, v46
	v_sub_nc_u16 v50, v34, v48
	ds_read2_b32 v[22:23], v20 offset1:156
	ds_read2_b32 v[24:25], v21 offset0:96 offset1:252
	ds_read2_b32 v[26:27], v1 offset0:56 offset1:212
	ds_read_u16 v45, v20 offset:3746
	v_add_nc_u32_e32 v9, 0x1800, v20
	v_add_nc_u16 v19, v46, v19
	ds_read2_b32 v[28:29], v8 offset0:48 offset1:204
	v_sub_nc_u16 v51, v35, v49
	v_lshrrev_b16 v50, 1, v50
	ds_read2_b32 v[30:31], v10 offset0:40 offset1:196
	ds_read2_b32 v[32:33], v9 offset0:24 offset1:180
	v_lshrrev_b16 v19, 5, v19
	v_mov_b32_e32 v47, 2
	v_lshrrev_b16 v51, 1, v51
	v_add_nc_u16 v48, v50, v48
	v_mul_u32_u24_e32 v37, 0x9c, v37
	v_and_b32_e32 v50, 7, v19
	v_lshlrev_b32_sdwa v19, v47, v44 dst_sel:DWORD dst_unused:UNUSED_PAD src0_sel:DWORD src1_sel:WORD_0
	v_add_nc_u16 v44, v51, v49
	v_lshlrev_b32_sdwa v42, v47, v42 dst_sel:DWORD dst_unused:UNUSED_PAD src0_sel:DWORD src1_sel:WORD_0
	v_lshrrev_b16 v48, 5, v48
	v_mul_lo_u16 v49, v50, 39
	v_mul_u32_u24_e32 v39, 0x9c, v39
	v_mul_u32_u24_e32 v41, 0x9c, v41
	s_waitcnt lgkmcnt(5)
	v_lshrrev_b32_e32 v56, 16, v24
	v_lshlrev_b32_sdwa v43, v47, v43 dst_sel:DWORD dst_unused:UNUSED_PAD src0_sel:DWORD src1_sel:WORD_0
	v_sub_nc_u16 v49, v0, v49
	s_waitcnt lgkmcnt(2)
	v_lshrrev_b32_e32 v60, 16, v28
	v_mul_lo_u16 v51, v48, 39
	v_add3_u32 v37, 0, v37, v42
	v_lshrrev_b32_e32 v57, 16, v25
	v_mul_u32_u24_sdwa v42, v49, v38 dst_sel:DWORD dst_unused:UNUSED_PAD src0_sel:BYTE_0 src1_sel:DWORD
	v_lshrrev_b32_e32 v61, 16, v29
	s_waitcnt lgkmcnt(0)
	v_lshrrev_b32_e32 v58, 16, v32
	v_lshrrev_b32_e32 v46, 16, v31
	v_lshrrev_b32_e32 v59, 16, v33
	v_sub_nc_u16 v34, v34, v51
	v_add3_u32 v39, 0, v39, v43
	v_add3_u32 v19, 0, v41, v19
	v_lshlrev_b32_e32 v41, 2, v42
	v_lshrrev_b32_e32 v52, 16, v22
	v_lshrrev_b32_e32 v55, 16, v27
	;; [unrolled: 1-line block ×4, first 2 shown]
	v_lshlrev_b32_sdwa v40, v47, v40 dst_sel:DWORD dst_unused:UNUSED_PAD src0_sel:DWORD src1_sel:BYTE_0
	v_lshrrev_b16 v44, 5, v44
	s_waitcnt vmcnt(0)
	s_barrier
	buffer_gl0_inv
	v_add3_u32 v36, 0, v36, v40
	v_mul_lo_u16 v40, v44, 39
	v_sub_nc_u16 v35, v35, v40
	v_mul_u32_u24_sdwa v40, v34, v38 dst_sel:DWORD dst_unused:UNUSED_PAD src0_sel:WORD_0 src1_sel:DWORD
	v_lshlrev_b32_sdwa v34, v47, v34 dst_sel:DWORD dst_unused:UNUSED_PAD src0_sel:DWORD src1_sel:WORD_0
	v_mul_f16_sdwa v42, v11, v60 dst_sel:DWORD dst_unused:UNUSED_PAD src0_sel:WORD_1 src1_sel:DWORD
	v_mul_f16_sdwa v43, v11, v28 dst_sel:DWORD dst_unused:UNUSED_PAD src0_sel:WORD_1 src1_sel:DWORD
	;; [unrolled: 1-line block ×8, first 2 shown]
	v_fma_f16 v28, v11, v28, -v42
	v_mul_f16_sdwa v67, v45, v15 dst_sel:DWORD dst_unused:UNUSED_PAD src0_sel:DWORD src1_sel:WORD_1
	v_mul_f16_sdwa v68, v15, v30 dst_sel:DWORD dst_unused:UNUSED_PAD src0_sel:WORD_1 src1_sel:DWORD
	v_mul_f16_sdwa v69, v58, v16 dst_sel:DWORD dst_unused:UNUSED_PAD src0_sel:DWORD src1_sel:WORD_1
	v_mul_f16_sdwa v70, v32, v16 dst_sel:DWORD dst_unused:UNUSED_PAD src0_sel:DWORD src1_sel:WORD_1
	;; [unrolled: 1-line block ×6, first 2 shown]
	v_fmac_f16_e32 v43, v11, v60
	v_fma_f16 v11, v12, v24, -v51
	v_fmac_f16_e32 v62, v12, v56
	v_fma_f16 v12, v13, v29, -v63
	;; [unrolled: 2-line block ×7, first 2 shown]
	v_fmac_f16_e32 v74, v59, v18
	v_add_f16_e32 v18, v22, v28
	v_add_f16_e32 v24, v28, v11
	;; [unrolled: 1-line block ×3, first 2 shown]
	v_sub_f16_e32 v25, v43, v62
	v_add_f16_e32 v29, v52, v43
	v_add_f16_e32 v32, v12, v13
	;; [unrolled: 1-line block ×5, first 2 shown]
	v_sub_f16_e32 v28, v28, v11
	v_add_f16_e32 v31, v23, v12
	v_add_f16_e32 v58, v27, v16
	;; [unrolled: 1-line block ×6, first 2 shown]
	v_fma_f16 v18, -0.5, v24, v22
	v_fmac_f16_e32 v52, -0.5, v30
	v_sub_f16_e32 v33, v64, v66
	v_add_f16_e32 v42, v53, v64
	v_sub_f16_e32 v12, v12, v13
	v_fmac_f16_e32 v23, -0.5, v32
	v_fmac_f16_e32 v53, -0.5, v43
	v_add_f16_e32 v45, v26, v14
	v_sub_f16_e32 v51, v68, v70
	v_add_f16_e32 v56, v54, v68
	v_sub_f16_e32 v14, v14, v15
	v_fma_f16 v26, -0.5, v46, v26
	v_fmac_f16_e32 v54, -0.5, v57
	v_sub_f16_e32 v60, v72, v74
	v_sub_f16_e32 v16, v16, v17
	v_add_f16_e32 v22, v29, v62
	v_add_f16_e32 v13, v31, v13
	v_add_f16_e32 v17, v58, v17
	v_fmac_f16_e32 v27, -0.5, v59
	v_add_f16_e32 v30, v61, v74
	v_fmac_f16_e32 v55, -0.5, v63
	v_fmamk_f16 v31, v25, 0x3aee, v18
	v_fmac_f16_e32 v18, 0xbaee, v25
	v_fmamk_f16 v25, v28, 0xbaee, v52
	v_fmac_f16_e32 v52, 0x3aee, v28
	v_add_f16_e32 v24, v42, v66
	v_fmamk_f16 v28, v33, 0x3aee, v23
	v_fmamk_f16 v32, v12, 0xbaee, v53
	v_fmac_f16_e32 v23, 0xbaee, v33
	v_fmac_f16_e32 v53, 0x3aee, v12
	v_add_f16_e32 v15, v45, v15
	v_add_f16_e32 v29, v56, v70
	v_fmamk_f16 v12, v51, 0x3aee, v26
	v_fmamk_f16 v33, v14, 0xbaee, v54
	v_fmac_f16_e32 v26, 0xbaee, v51
	v_fmac_f16_e32 v54, 0x3aee, v14
	v_fmamk_f16 v14, v60, 0x3aee, v27
	v_fmac_f16_e32 v27, 0xbaee, v60
	v_fmamk_f16 v42, v16, 0xbaee, v55
	v_fmac_f16_e32 v55, 0x3aee, v16
	v_pack_b32_f16 v11, v11, v22
	v_pack_b32_f16 v16, v17, v30
	;; [unrolled: 1-line block ×12, first 2 shown]
	ds_write2_b32 v36, v11, v17 offset1:13
	ds_write_b32 v36, v18 offset:104
	ds_write2_b32 v37, v13, v22 offset1:13
	ds_write_b32 v37, v23 offset:104
	;; [unrolled: 2-line block ×4, first 2 shown]
	v_mul_u32_u24_sdwa v17, v35, v38 dst_sel:DWORD dst_unused:UNUSED_PAD src0_sel:WORD_0 src1_sel:DWORD
	v_lshlrev_b32_e32 v14, 2, v40
	s_waitcnt lgkmcnt(0)
	s_barrier
	buffer_gl0_inv
	v_lshlrev_b32_e32 v17, 2, v17
	s_clause 0x1
	global_load_dwordx3 v[11:13], v41, s[8:9] offset:104
	global_load_dwordx3 v[14:16], v14, s[8:9] offset:104
	v_mov_b32_e32 v32, 0x270
	v_lshlrev_b32_sdwa v35, v47, v35 dst_sel:DWORD dst_unused:UNUSED_PAD src0_sel:DWORD src1_sel:WORD_0
	global_load_dwordx3 v[17:19], v17, s[8:9] offset:104
	ds_read2_b32 v[22:23], v9 offset0:24 offset1:180
	ds_read2_b32 v[24:25], v8 offset0:48 offset1:204
	;; [unrolled: 1-line block ×5, first 2 shown]
	v_mul_u32_u24_sdwa v37, v48, v32 dst_sel:DWORD dst_unused:UNUSED_PAD src0_sel:WORD_0 src1_sel:DWORD
	v_mul_u32_u24_sdwa v38, v44, v32 dst_sel:DWORD dst_unused:UNUSED_PAD src0_sel:WORD_0 src1_sel:DWORD
	;; [unrolled: 1-line block ×3, first 2 shown]
	ds_read2_b32 v[32:33], v20 offset1:156
	v_lshlrev_b32_sdwa v40, v47, v49 dst_sel:DWORD dst_unused:UNUSED_PAD src0_sel:DWORD src1_sel:BYTE_0
	v_add3_u32 v34, 0, v37, v34
	v_add3_u32 v35, 0, v38, v35
	v_mul_u32_u24_e32 v36, 5, v0
	s_waitcnt vmcnt(0) lgkmcnt(0)
	v_add3_u32 v37, 0, v39, v40
	s_barrier
	buffer_gl0_inv
	v_lshlrev_b32_e32 v36, 2, v36
	v_lshrrev_b32_e32 v38, 16, v22
	v_lshrrev_b32_e32 v45, 16, v24
	v_lshrrev_b32_e32 v42, 16, v29
	v_lshrrev_b32_e32 v43, 16, v30
	v_lshrrev_b32_e32 v44, 16, v27
	v_lshrrev_b32_e32 v46, 16, v31
	v_lshrrev_b32_e32 v39, 16, v25
	v_lshrrev_b32_e32 v40, 16, v26
	v_lshrrev_b32_e32 v41, 16, v23
	v_lshrrev_b32_e32 v47, 16, v32
	v_lshrrev_b32_e32 v48, 16, v33
	v_lshrrev_b32_e32 v49, 16, v28
	v_mul_f16_sdwa v50, v11, v42 dst_sel:DWORD dst_unused:UNUSED_PAD src0_sel:WORD_1 src1_sel:DWORD
	v_mul_f16_sdwa v51, v11, v29 dst_sel:DWORD dst_unused:UNUSED_PAD src0_sel:WORD_1 src1_sel:DWORD
	;; [unrolled: 1-line block ×10, first 2 shown]
	v_mul_f16_sdwa v60, v38, v16 dst_sel:DWORD dst_unused:UNUSED_PAD src0_sel:DWORD src1_sel:WORD_1
	v_mul_f16_sdwa v61, v22, v16 dst_sel:DWORD dst_unused:UNUSED_PAD src0_sel:DWORD src1_sel:WORD_1
	;; [unrolled: 1-line block ×8, first 2 shown]
	v_fma_f16 v29, v11, v29, -v50
	v_fmac_f16_e32 v51, v11, v42
	v_fma_f16 v11, v12, v30, -v52
	v_fmac_f16_e32 v53, v12, v43
	;; [unrolled: 2-line block ×9, first 2 shown]
	v_sub_f16_e32 v11, v32, v11
	v_sub_f16_e32 v19, v47, v53
	;; [unrolled: 1-line block ×12, first 2 shown]
	v_fma_f16 v27, v32, 2.0, -v11
	v_fma_f16 v30, v47, 2.0, -v19
	;; [unrolled: 1-line block ×12, first 2 shown]
	v_sub_f16_e32 v22, v11, v22
	v_add_f16_e32 v12, v19, v12
	v_sub_f16_e32 v24, v14, v24
	v_add_f16_e32 v15, v23, v15
	v_sub_f16_e32 v29, v27, v29
	v_sub_f16_e32 v31, v30, v31
	;; [unrolled: 1-line block ×3, first 2 shown]
	v_add_f16_e32 v18, v25, v18
	v_sub_f16_e32 v13, v32, v13
	v_sub_f16_e32 v38, v33, v38
	;; [unrolled: 1-line block ×4, first 2 shown]
	v_fma_f16 v11, v11, 2.0, -v22
	v_fma_f16 v19, v19, 2.0, -v12
	;; [unrolled: 1-line block ×4, first 2 shown]
	v_pack_b32_f16 v12, v22, v12
	v_pack_b32_f16 v15, v24, v15
	v_fma_f16 v22, v27, 2.0, -v29
	v_fma_f16 v24, v30, 2.0, -v31
	;; [unrolled: 1-line block ×4, first 2 shown]
	v_pack_b32_f16 v18, v26, v18
	v_fma_f16 v26, v32, 2.0, -v13
	v_fma_f16 v27, v33, 2.0, -v38
	;; [unrolled: 1-line block ×4, first 2 shown]
	v_pack_b32_f16 v11, v11, v19
	v_pack_b32_f16 v19, v29, v31
	;; [unrolled: 1-line block ×9, first 2 shown]
	ds_write2_b32 v37, v19, v12 offset0:78 offset1:117
	ds_write2_b32 v37, v22, v11 offset1:39
	ds_write2_b32 v34, v23, v14 offset1:39
	ds_write2_b32 v34, v13, v15 offset0:78 offset1:117
	ds_write2_b32 v35, v24, v17 offset1:39
	ds_write2_b32 v35, v16, v18 offset0:78 offset1:117
	s_waitcnt lgkmcnt(0)
	s_barrier
	buffer_gl0_inv
	s_clause 0x1
	global_load_dwordx4 v[11:14], v36, s[8:9] offset:572
	global_load_dword v19, v36, s[8:9] offset:588
	v_add_co_u32 v28, s0, s8, v4
	v_add_co_ci_u32_e64 v29, s0, s9, v5, s0
	v_add_co_u32 v30, s0, s8, v6
	v_add_co_ci_u32_e64 v31, s0, s9, v7, s0
	ds_read2_b32 v[4:5], v20 offset1:156
	ds_read2_b32 v[6:7], v1 offset0:56 offset1:212
	ds_read2_b32 v[15:16], v8 offset0:48 offset1:204
	;; [unrolled: 1-line block ×5, first 2 shown]
	v_add_co_u32 v26, s0, 0x1800, v30
	v_add_co_ci_u32_e64 v27, s0, 0, v31, s0
	v_add_co_u32 v28, s0, 0x800, v28
	v_add_co_ci_u32_e64 v29, s0, 0, v29, s0
	;; [unrolled: 2-line block ×3, first 2 shown]
	s_waitcnt vmcnt(0) lgkmcnt(0)
	s_barrier
	v_lshrrev_b32_e32 v32, 16, v4
	v_lshrrev_b32_e32 v34, 16, v7
	;; [unrolled: 1-line block ×12, first 2 shown]
	buffer_gl0_inv
	v_mul_f16_sdwa v46, v12, v40 dst_sel:DWORD dst_unused:UNUSED_PAD src0_sel:WORD_1 src1_sel:DWORD
	v_mul_f16_sdwa v47, v12, v15 dst_sel:DWORD dst_unused:UNUSED_PAD src0_sel:WORD_1 src1_sel:DWORD
	;; [unrolled: 1-line block ×10, first 2 shown]
	v_mul_f16_sdwa v54, v34, v11 dst_sel:DWORD dst_unused:UNUSED_PAD src0_sel:DWORD src1_sel:WORD_1
	v_mul_f16_sdwa v55, v7, v11 dst_sel:DWORD dst_unused:UNUSED_PAD src0_sel:DWORD src1_sel:WORD_1
	;; [unrolled: 1-line block ×10, first 2 shown]
	v_fma_f16 v15, v12, v15, -v46
	v_fmac_f16_e32 v47, v12, v40
	v_fma_f16 v17, v13, v17, -v48
	v_fmac_f16_e32 v49, v13, v41
	;; [unrolled: 2-line block ×10, first 2 shown]
	v_add_f16_e32 v18, v15, v22
	v_add_f16_e32 v25, v47, v51
	;; [unrolled: 1-line block ×5, first 2 shown]
	v_sub_f16_e32 v36, v49, v53
	v_add_f16_e32 v37, v45, v49
	v_add_f16_e32 v43, v57, v61
	;; [unrolled: 1-line block ×5, first 2 shown]
	v_sub_f16_e32 v19, v47, v51
	v_sub_f16_e32 v15, v15, v22
	v_add_f16_e32 v34, v6, v17
	v_sub_f16_e32 v17, v17, v24
	v_add_f16_e32 v39, v5, v11
	v_add_f16_e32 v42, v33, v57
	;; [unrolled: 1-line block ×4, first 2 shown]
	v_fma_f16 v4, -0.5, v18, v4
	v_fmac_f16_e32 v32, -0.5, v25
	v_fmac_f16_e32 v6, -0.5, v35
	;; [unrolled: 1-line block ×3, first 2 shown]
	v_add_f16_e32 v40, v11, v13
	v_sub_f16_e32 v11, v11, v13
	v_sub_f16_e32 v47, v59, v63
	;; [unrolled: 1-line block ×3, first 2 shown]
	v_add_f16_e32 v18, v23, v51
	v_add_f16_e32 v23, v37, v53
	v_fmac_f16_e32 v33, -0.5, v43
	v_fmac_f16_e32 v7, -0.5, v46
	;; [unrolled: 1-line block ×3, first 2 shown]
	v_add_f16_e32 v16, v16, v22
	v_add_f16_e32 v22, v34, v24
	;; [unrolled: 1-line block ×6, first 2 shown]
	v_fmamk_f16 v34, v19, 0x3aee, v4
	v_fmac_f16_e32 v4, 0xbaee, v19
	v_fmamk_f16 v19, v15, 0xbaee, v32
	v_fmac_f16_e32 v32, 0x3aee, v15
	v_fmamk_f16 v15, v36, 0x3aee, v6
	v_fmamk_f16 v35, v17, 0xbaee, v45
	v_fmac_f16_e32 v6, 0xbaee, v36
	v_fmac_f16_e32 v45, 0x3aee, v17
	v_sub_f16_e32 v41, v57, v61
	v_fmac_f16_e32 v5, -0.5, v40
	v_add_f16_e32 v36, v18, v23
	v_sub_f16_e32 v18, v18, v23
	v_fmamk_f16 v23, v11, 0xbaee, v33
	v_fmac_f16_e32 v33, 0x3aee, v11
	v_fmamk_f16 v11, v47, 0x3aee, v7
	v_fmamk_f16 v37, v12, 0xbaee, v55
	v_fmac_f16_e32 v7, 0xbaee, v47
	v_fmac_f16_e32 v55, 0x3aee, v12
	v_add_f16_e32 v12, v13, v14
	v_add_f16_e32 v38, v24, v25
	v_sub_f16_e32 v13, v13, v14
	v_sub_f16_e32 v14, v24, v25
	v_mul_f16_e32 v24, 0x3aee, v35
	v_mul_f16_e32 v39, 0xbaee, v15
	v_mul_f16_e32 v25, -0.5, v6
	v_mul_f16_e32 v40, -0.5, v45
	v_add_f16_e32 v17, v16, v22
	v_sub_f16_e32 v16, v16, v22
	v_fmamk_f16 v22, v41, 0x3aee, v5
	v_fmac_f16_e32 v5, 0xbaee, v41
	v_mul_f16_e32 v41, 0x3aee, v37
	v_mul_f16_e32 v43, 0xbaee, v11
	v_mul_f16_e32 v42, -0.5, v7
	v_mul_f16_e32 v44, -0.5, v55
	v_fmac_f16_e32 v24, 0.5, v15
	v_fmac_f16_e32 v39, 0.5, v35
	v_fmac_f16_e32 v25, 0x3aee, v45
	v_fmac_f16_e32 v40, 0xbaee, v6
	v_fmac_f16_e32 v41, 0.5, v11
	v_fmac_f16_e32 v43, 0.5, v37
	v_fmac_f16_e32 v42, 0x3aee, v55
	v_fmac_f16_e32 v44, 0xbaee, v7
	v_add_f16_e32 v6, v34, v24
	v_add_f16_e32 v11, v19, v39
	v_pack_b32_f16 v13, v13, v14
	v_add_f16_e32 v7, v4, v25
	v_add_f16_e32 v14, v32, v40
	v_pack_b32_f16 v16, v16, v18
	v_sub_f16_e32 v15, v34, v24
	v_sub_f16_e32 v4, v4, v25
	;; [unrolled: 1-line block ×4, first 2 shown]
	v_add_f16_e32 v24, v22, v41
	v_add_f16_e32 v32, v23, v43
	;; [unrolled: 1-line block ×4, first 2 shown]
	v_pack_b32_f16 v17, v17, v36
	v_sub_f16_e32 v22, v22, v41
	v_sub_f16_e32 v5, v5, v42
	;; [unrolled: 1-line block ×4, first 2 shown]
	v_pack_b32_f16 v6, v6, v11
	v_pack_b32_f16 v7, v7, v14
	;; [unrolled: 1-line block ×9, first 2 shown]
	ds_write2_b32 v20, v17, v6 offset1:156
	ds_write2_b32 v1, v7, v16 offset0:56 offset1:212
	ds_write2_b32 v8, v11, v4 offset0:48 offset1:204
	;; [unrolled: 1-line block ×5, first 2 shown]
	s_waitcnt lgkmcnt(0)
	s_barrier
	buffer_gl0_inv
	s_clause 0x5
	global_load_dword v19, v[28:29], off offset:1644
	global_load_dword v22, v[30:31], off offset:220
	;; [unrolled: 1-line block ×6, first 2 shown]
	ds_read2_b32 v[4:5], v10 offset0:40 offset1:196
	ds_read2_b32 v[6:7], v21 offset0:96 offset1:252
	;; [unrolled: 1-line block ×3, first 2 shown]
	ds_read2_b32 v[13:14], v20 offset1:156
	ds_read2_b32 v[15:16], v1 offset0:56 offset1:212
	ds_read2_b32 v[17:18], v8 offset0:48 offset1:204
	s_waitcnt vmcnt(0) lgkmcnt(0)
	s_barrier
	buffer_gl0_inv
	v_pk_mul_f16 v27, v19, v4 op_sel:[0,1]
	v_pk_mul_f16 v28, v22, v5 op_sel:[0,1]
	;; [unrolled: 1-line block ×6, first 2 shown]
	v_pk_fma_f16 v33, v19, v4, v27 op_sel:[0,0,1] op_sel_hi:[1,1,0] neg_lo:[0,0,1] neg_hi:[0,0,1]
	v_pk_fma_f16 v4, v19, v4, v27 op_sel:[0,0,1] op_sel_hi:[1,0,0]
	v_pk_fma_f16 v19, v22, v5, v28 op_sel:[0,0,1] op_sel_hi:[1,1,0] neg_lo:[0,0,1] neg_hi:[0,0,1]
	v_pk_fma_f16 v5, v22, v5, v28 op_sel:[0,0,1] op_sel_hi:[1,0,0]
	;; [unrolled: 2-line block ×6, first 2 shown]
	v_bfi_b32 v4, 0xffff, v33, v4
	v_bfi_b32 v5, 0xffff, v19, v5
	;; [unrolled: 1-line block ×6, first 2 shown]
	v_pk_add_f16 v4, v13, v4 neg_lo:[0,1] neg_hi:[0,1]
	v_pk_add_f16 v5, v14, v5 neg_lo:[0,1] neg_hi:[0,1]
	;; [unrolled: 1-line block ×6, first 2 shown]
	v_pk_fma_f16 v13, v13, 2.0, v4 op_sel_hi:[1,0,1] neg_lo:[0,0,1] neg_hi:[0,0,1]
	v_pk_fma_f16 v14, v14, 2.0, v5 op_sel_hi:[1,0,1] neg_lo:[0,0,1] neg_hi:[0,0,1]
	;; [unrolled: 1-line block ×6, first 2 shown]
	ds_write2_b32 v10, v4, v5 offset0:40 offset1:196
	ds_write2_b32 v21, v6, v7 offset0:96 offset1:252
	;; [unrolled: 1-line block ×3, first 2 shown]
	ds_write2_b32 v20, v13, v14 offset1:156
	ds_write2_b32 v1, v15, v16 offset0:56 offset1:212
	ds_write2_b32 v8, v17, v18 offset0:48 offset1:204
	s_waitcnt lgkmcnt(0)
	s_barrier
	buffer_gl0_inv
	s_and_saveexec_b32 s0, vcc_lo
	s_cbranch_execz .LBB0_21
; %bb.20:
	v_lshl_add_u32 v18, v0, 2, 0
	v_mov_b32_e32 v1, 0
	v_add_nc_u32_e32 v4, 0x9c, v0
	v_add_co_u32 v19, vcc_lo, s2, v2
	v_add_nc_u32_e32 v9, 0x400, v18
	ds_read2_b32 v[6:7], v18 offset1:156
	v_mov_b32_e32 v5, v1
	v_add_co_ci_u32_e32 v20, vcc_lo, s3, v3, vcc_lo
	ds_read2_b32 v[10:11], v9 offset0:56 offset1:212
	v_lshlrev_b64 v[2:3], 2, v[0:1]
	v_add_nc_u32_e32 v8, 0x138, v0
	v_mov_b32_e32 v9, v1
	v_lshlrev_b64 v[4:5], 2, v[4:5]
	v_add_nc_u32_e32 v12, 0x1d4, v0
	v_mov_b32_e32 v13, v1
	v_add_co_u32 v2, vcc_lo, v19, v2
	v_lshlrev_b64 v[8:9], 2, v[8:9]
	v_add_co_ci_u32_e32 v3, vcc_lo, v20, v3, vcc_lo
	v_add_co_u32 v4, vcc_lo, v19, v4
	v_add_co_ci_u32_e32 v5, vcc_lo, v20, v5, vcc_lo
	v_add_co_u32 v8, vcc_lo, v19, v8
	v_add_co_ci_u32_e32 v9, vcc_lo, v20, v9, vcc_lo
	s_waitcnt lgkmcnt(1)
	global_store_dword v[2:3], v6, off
	global_store_dword v[4:5], v7, off
	s_waitcnt lgkmcnt(0)
	global_store_dword v[8:9], v10, off
	v_add_nc_u32_e32 v8, 0x900, v18
	v_add_nc_u32_e32 v10, 0xe00, v18
	;; [unrolled: 1-line block ×3, first 2 shown]
	v_mov_b32_e32 v5, v1
	v_lshlrev_b64 v[2:3], 2, v[12:13]
	ds_read2_b32 v[8:9], v8 offset0:48 offset1:204
	v_add_nc_u32_e32 v6, 0x30c, v0
	v_mov_b32_e32 v7, v1
	ds_read2_b32 v[14:15], v10 offset0:40 offset1:196
	v_lshlrev_b64 v[4:5], 2, v[4:5]
	v_add_nc_u32_e32 v12, 0x3a8, v0
	v_add_co_u32 v2, vcc_lo, v19, v2
	v_lshlrev_b64 v[6:7], 2, v[6:7]
	v_add_co_ci_u32_e32 v3, vcc_lo, v20, v3, vcc_lo
	v_add_co_u32 v4, vcc_lo, v19, v4
	v_lshlrev_b64 v[12:13], 2, v[12:13]
	v_add_co_ci_u32_e32 v5, vcc_lo, v20, v5, vcc_lo
	v_add_co_u32 v6, vcc_lo, v19, v6
	v_add_co_ci_u32_e32 v7, vcc_lo, v20, v7, vcc_lo
	v_add_co_u32 v12, vcc_lo, v19, v12
	v_add_co_ci_u32_e32 v13, vcc_lo, v20, v13, vcc_lo
	v_add_nc_u32_e32 v16, 0x444, v0
	v_mov_b32_e32 v17, v1
	global_store_dword v[2:3], v11, off
	s_waitcnt lgkmcnt(1)
	global_store_dword v[4:5], v8, off
	global_store_dword v[6:7], v9, off
	s_waitcnt lgkmcnt(0)
	global_store_dword v[12:13], v14, off
	v_add_nc_u32_e32 v8, 0x1200, v18
	v_add_nc_u32_e32 v4, 0x4e0, v0
	v_mov_b32_e32 v5, v1
	v_add_nc_u32_e32 v12, 0x1800, v18
	v_lshlrev_b64 v[2:3], 2, v[16:17]
	v_add_nc_u32_e32 v6, 0x57c, v0
	v_mov_b32_e32 v7, v1
	ds_read2_b32 v[8:9], v8 offset0:96 offset1:252
	v_lshlrev_b64 v[4:5], 2, v[4:5]
	v_add_nc_u32_e32 v10, 0x618, v0
	v_mov_b32_e32 v11, v1
	ds_read2_b32 v[12:13], v12 offset0:24 offset1:180
	v_add_co_u32 v2, vcc_lo, v19, v2
	v_lshlrev_b64 v[6:7], 2, v[6:7]
	v_add_nc_u32_e32 v0, 0x6b4, v0
	v_add_co_ci_u32_e32 v3, vcc_lo, v20, v3, vcc_lo
	v_add_co_u32 v4, vcc_lo, v19, v4
	v_lshlrev_b64 v[10:11], 2, v[10:11]
	v_add_co_ci_u32_e32 v5, vcc_lo, v20, v5, vcc_lo
	v_add_co_u32 v6, vcc_lo, v19, v6
	v_lshlrev_b64 v[0:1], 2, v[0:1]
	v_add_co_ci_u32_e32 v7, vcc_lo, v20, v7, vcc_lo
	v_add_co_u32 v10, vcc_lo, v19, v10
	v_add_co_ci_u32_e32 v11, vcc_lo, v20, v11, vcc_lo
	v_add_co_u32 v0, vcc_lo, v19, v0
	v_add_co_ci_u32_e32 v1, vcc_lo, v20, v1, vcc_lo
	global_store_dword v[2:3], v15, off
	s_waitcnt lgkmcnt(1)
	global_store_dword v[4:5], v8, off
	global_store_dword v[6:7], v9, off
	s_waitcnt lgkmcnt(0)
	global_store_dword v[10:11], v12, off
	global_store_dword v[0:1], v13, off
.LBB0_21:
	s_endpgm
	.section	.rodata,"a",@progbits
	.p2align	6, 0x0
	.amdhsa_kernel fft_rtc_fwd_len1872_factors_13_3_4_6_2_wgs_156_tpt_156_halfLds_half_ip_CI_unitstride_sbrr_C2R_dirReg
		.amdhsa_group_segment_fixed_size 0
		.amdhsa_private_segment_fixed_size 0
		.amdhsa_kernarg_size 88
		.amdhsa_user_sgpr_count 6
		.amdhsa_user_sgpr_private_segment_buffer 1
		.amdhsa_user_sgpr_dispatch_ptr 0
		.amdhsa_user_sgpr_queue_ptr 0
		.amdhsa_user_sgpr_kernarg_segment_ptr 1
		.amdhsa_user_sgpr_dispatch_id 0
		.amdhsa_user_sgpr_flat_scratch_init 0
		.amdhsa_user_sgpr_private_segment_size 0
		.amdhsa_wavefront_size32 1
		.amdhsa_uses_dynamic_stack 0
		.amdhsa_system_sgpr_private_segment_wavefront_offset 0
		.amdhsa_system_sgpr_workgroup_id_x 1
		.amdhsa_system_sgpr_workgroup_id_y 0
		.amdhsa_system_sgpr_workgroup_id_z 0
		.amdhsa_system_sgpr_workgroup_info 0
		.amdhsa_system_vgpr_workitem_id 0
		.amdhsa_next_free_vgpr 79
		.amdhsa_next_free_sgpr 21
		.amdhsa_reserve_vcc 1
		.amdhsa_reserve_flat_scratch 0
		.amdhsa_float_round_mode_32 0
		.amdhsa_float_round_mode_16_64 0
		.amdhsa_float_denorm_mode_32 3
		.amdhsa_float_denorm_mode_16_64 3
		.amdhsa_dx10_clamp 1
		.amdhsa_ieee_mode 1
		.amdhsa_fp16_overflow 0
		.amdhsa_workgroup_processor_mode 1
		.amdhsa_memory_ordered 1
		.amdhsa_forward_progress 0
		.amdhsa_shared_vgpr_count 0
		.amdhsa_exception_fp_ieee_invalid_op 0
		.amdhsa_exception_fp_denorm_src 0
		.amdhsa_exception_fp_ieee_div_zero 0
		.amdhsa_exception_fp_ieee_overflow 0
		.amdhsa_exception_fp_ieee_underflow 0
		.amdhsa_exception_fp_ieee_inexact 0
		.amdhsa_exception_int_div_zero 0
	.end_amdhsa_kernel
	.text
.Lfunc_end0:
	.size	fft_rtc_fwd_len1872_factors_13_3_4_6_2_wgs_156_tpt_156_halfLds_half_ip_CI_unitstride_sbrr_C2R_dirReg, .Lfunc_end0-fft_rtc_fwd_len1872_factors_13_3_4_6_2_wgs_156_tpt_156_halfLds_half_ip_CI_unitstride_sbrr_C2R_dirReg
                                        ; -- End function
	.section	.AMDGPU.csdata,"",@progbits
; Kernel info:
; codeLenInByte = 10388
; NumSgprs: 23
; NumVgprs: 79
; ScratchSize: 0
; MemoryBound: 0
; FloatMode: 240
; IeeeMode: 1
; LDSByteSize: 0 bytes/workgroup (compile time only)
; SGPRBlocks: 2
; VGPRBlocks: 9
; NumSGPRsForWavesPerEU: 23
; NumVGPRsForWavesPerEU: 79
; Occupancy: 12
; WaveLimiterHint : 1
; COMPUTE_PGM_RSRC2:SCRATCH_EN: 0
; COMPUTE_PGM_RSRC2:USER_SGPR: 6
; COMPUTE_PGM_RSRC2:TRAP_HANDLER: 0
; COMPUTE_PGM_RSRC2:TGID_X_EN: 1
; COMPUTE_PGM_RSRC2:TGID_Y_EN: 0
; COMPUTE_PGM_RSRC2:TGID_Z_EN: 0
; COMPUTE_PGM_RSRC2:TIDIG_COMP_CNT: 0
	.text
	.p2alignl 6, 3214868480
	.fill 48, 4, 3214868480
	.type	__hip_cuid_2fc70a3757214070,@object ; @__hip_cuid_2fc70a3757214070
	.section	.bss,"aw",@nobits
	.globl	__hip_cuid_2fc70a3757214070
__hip_cuid_2fc70a3757214070:
	.byte	0                               ; 0x0
	.size	__hip_cuid_2fc70a3757214070, 1

	.ident	"AMD clang version 19.0.0git (https://github.com/RadeonOpenCompute/llvm-project roc-6.4.0 25133 c7fe45cf4b819c5991fe208aaa96edf142730f1d)"
	.section	".note.GNU-stack","",@progbits
	.addrsig
	.addrsig_sym __hip_cuid_2fc70a3757214070
	.amdgpu_metadata
---
amdhsa.kernels:
  - .args:
      - .actual_access:  read_only
        .address_space:  global
        .offset:         0
        .size:           8
        .value_kind:     global_buffer
      - .offset:         8
        .size:           8
        .value_kind:     by_value
      - .actual_access:  read_only
        .address_space:  global
        .offset:         16
        .size:           8
        .value_kind:     global_buffer
      - .actual_access:  read_only
        .address_space:  global
        .offset:         24
        .size:           8
        .value_kind:     global_buffer
      - .offset:         32
        .size:           8
        .value_kind:     by_value
      - .actual_access:  read_only
        .address_space:  global
        .offset:         40
        .size:           8
        .value_kind:     global_buffer
      - .actual_access:  read_only
        .address_space:  global
        .offset:         48
        .size:           8
        .value_kind:     global_buffer
      - .offset:         56
        .size:           4
        .value_kind:     by_value
      - .actual_access:  read_only
        .address_space:  global
        .offset:         64
        .size:           8
        .value_kind:     global_buffer
      - .actual_access:  read_only
        .address_space:  global
        .offset:         72
        .size:           8
        .value_kind:     global_buffer
      - .address_space:  global
        .offset:         80
        .size:           8
        .value_kind:     global_buffer
    .group_segment_fixed_size: 0
    .kernarg_segment_align: 8
    .kernarg_segment_size: 88
    .language:       OpenCL C
    .language_version:
      - 2
      - 0
    .max_flat_workgroup_size: 156
    .name:           fft_rtc_fwd_len1872_factors_13_3_4_6_2_wgs_156_tpt_156_halfLds_half_ip_CI_unitstride_sbrr_C2R_dirReg
    .private_segment_fixed_size: 0
    .sgpr_count:     23
    .sgpr_spill_count: 0
    .symbol:         fft_rtc_fwd_len1872_factors_13_3_4_6_2_wgs_156_tpt_156_halfLds_half_ip_CI_unitstride_sbrr_C2R_dirReg.kd
    .uniform_work_group_size: 1
    .uses_dynamic_stack: false
    .vgpr_count:     79
    .vgpr_spill_count: 0
    .wavefront_size: 32
    .workgroup_processor_mode: 1
amdhsa.target:   amdgcn-amd-amdhsa--gfx1030
amdhsa.version:
  - 1
  - 2
...

	.end_amdgpu_metadata
